;; amdgpu-corpus repo=ROCm/bitsandbytes kind=harvested arch=n/a opt=n/a
	.text
	.amdgcn_target "amdgcn-amd-amdhsa--gfx942"
	.amdhsa_code_object_version 6
	.protected	_Z21kOptimizer32bit2StateI12hip_bfloat16Li6EEvPT_S2_PfS3_S3_ffffffffiffbi ; -- Begin function _Z21kOptimizer32bit2StateI12hip_bfloat16Li6EEvPT_S2_PfS3_S3_ffffffffiffbi
	.globl	_Z21kOptimizer32bit2StateI12hip_bfloat16Li6EEvPT_S2_PfS3_S3_ffffffffiffbi
	.p2align	8
	.type	_Z21kOptimizer32bit2StateI12hip_bfloat16Li6EEvPT_S2_PfS3_S3_ffffffffiffbi,@function
_Z21kOptimizer32bit2StateI12hip_bfloat16Li6EEvPT_S2_PfS3_S3_ffffffffiffbi: ; @_Z21kOptimizer32bit2StateI12hip_bfloat16Li6EEvPT_S2_PfS3_S3_ffffffffiffbi
; %bb.0:
	s_load_dword s30, s[0:1], 0x58
	s_load_dword s3, s[0:1], 0x6c
	s_mov_b32 s29, 0
	s_waitcnt lgkmcnt(0)
	s_ashr_i32 s4, s30, 31
	s_lshr_b32 s4, s4, 20
	s_add_i32 s4, s30, s4
	s_and_b32 s5, s30, 0xfff
	s_and_b32 s6, s4, 0xfffff000
	s_cmp_lg_u32 s5, 0
	s_cselect_b64 s[4:5], -1, 0
	v_cndmask_b32_e64 v1, 0, 1, s[4:5]
	s_nop 0
	v_readfirstlane_b32 s4, v1
	s_lshl_b32 s31, s4, 12
	s_add_i32 s31, s31, s6
	s_add_u32 s10, s0, 0x60
	s_addc_u32 s11, s1, 0
	s_and_b32 s3, s3, 0xffff
	s_mul_i32 s35, s2, s3
	s_lshl_b32 s28, s35, 2
	s_cmp_ge_u32 s28, s31
	s_cbranch_scc1 .LBB73_131
; %bb.1:
	s_load_dwordx8 s[12:19], s[0:1], 0x30
	s_mov_b32 s33, 0x7f800000
	v_mov_b32_e32 v1, 0x7f800000
	s_mov_b32 s42, 0x3f2aaaab
	s_mov_b32 s41, 0x3f317218
	s_waitcnt lgkmcnt(0)
	v_cvt_f32_i32_e32 v3, s18
	v_cmp_neq_f32_e64 vcc, s13, 1.0
	v_mov_b32_e32 v2, s13
	v_mov_b32_e32 v24, 0x3e91f4c4
	v_cndmask_b32_e32 v6, 1.0, v3, vcc
	v_cmp_eq_f32_e32 vcc, 0, v6
	v_cmp_gt_f32_e64 s[4:5], 0, v6
	v_trunc_f32_e32 v8, v6
	v_cndmask_b32_e64 v4, v2, 1.0, vcc
	v_cndmask_b32_e64 v7, |v2|, 1.0, vcc
	v_cmp_eq_f32_e32 vcc, 0, v4
	s_xor_b64 s[4:5], s[4:5], vcc
	v_cmp_eq_f32_e64 s[2:3], s33, v7
	v_cndmask_b32_e64 v5, v1, 0, s[4:5]
	v_cmp_eq_f32_e64 s[4:5], v8, v6
	v_cvt_f64_f32_e32 v[8:9], v7
	v_frexp_mant_f32_e32 v7, v7
	v_frexp_exp_i32_f64_e32 v8, v[8:9]
	v_cmp_gt_f32_e64 s[8:9], s42, v7
	v_mul_f32_e32 v10, 0.5, v6
	s_movk_i32 s36, 0x204
	v_subbrev_co_u32_e64 v8, s[6:7], 0, v8, s[8:9]
	v_cvt_f32_i32_e32 v9, v8
	v_trunc_f32_e32 v8, v10
	v_cmp_neq_f32_e64 s[6:7], v8, v10
	v_cndmask_b32_e64 v10, 1.0, 2.0, s[8:9]
	v_mul_f32_e32 v7, v7, v10
	v_add_f32_e32 v11, 1.0, v7
	v_rcp_f32_e32 v20, v11
	v_mul_f32_e32 v8, 0x3f317218, v9
	v_fma_f32 v10, v9, s41, -v8
	v_add_f32_e32 v13, -1.0, v7
	v_fmac_f32_e32 v10, 0xb102e308, v9
	v_mul_f32_e32 v9, v13, v20
	v_mul_f32_e32 v14, v11, v9
	v_add_f32_e32 v12, -1.0, v11
	v_sub_f32_e32 v7, v7, v12
	v_fma_f32 v16, v9, v11, -v14
	v_fmac_f32_e32 v16, v9, v7
	v_add_f32_e32 v12, v14, v16
	v_sub_f32_e32 v15, v13, v12
	v_pk_add_f32 v[18:19], v[12:13], v[14:15] neg_lo:[0,1] neg_hi:[0,1]
	v_mov_b32_e32 v17, v12
	v_pk_add_f32 v[12:13], v[18:19], v[16:17] neg_lo:[0,1] neg_hi:[0,1]
	s_mov_b32 s37, 0x42b17218
	v_add_f32_e32 v7, v12, v13
	v_add_f32_e32 v7, v15, v7
	v_mul_f32_e32 v7, v20, v7
	v_add_f32_e32 v12, v9, v7
	v_sub_f32_e32 v9, v12, v9
	v_sub_f32_e32 v7, v7, v9
	v_mul_f32_e32 v11, v12, v12
	v_add_f32_e32 v9, v7, v7
	v_fma_f32 v13, v12, v12, -v11
	v_fmac_f32_e32 v13, v12, v9
	v_add_f32_e32 v14, v11, v13
	v_sub_f32_e32 v9, v14, v11
	v_fmamk_f32 v11, v14, 0x3e76c4e1, v24
	v_fmaak_f32 v11, v14, v11, 0x3ecccdef
	v_sub_f32_e32 v9, v13, v9
	v_mul_f32_e32 v13, v14, v11
	v_fma_f32 v15, v14, v11, -v13
	v_fmac_f32_e32 v15, v9, v11
	v_add_f32_e32 v11, v13, v15
	v_sub_f32_e32 v13, v11, v13
	v_add_f32_e32 v17, 0x3f2aaaaa, v11
	v_sub_f32_e32 v13, v15, v13
	v_add_f32_e32 v15, 0xbf2aaaaa, v17
	v_add_f32_e32 v13, 0x31739010, v13
	v_sub_f32_e32 v15, v11, v15
	v_pk_mul_f32 v[18:19], v[12:13], v[14:15]
	v_pk_add_f32 v[20:21], v[12:13], v[14:15]
	v_fma_f32 v16, v14, v12, -v18
	v_fmac_f32_e32 v16, v14, v7
	v_mov_b32_e32 v19, v21
	v_fmac_f32_e32 v16, v9, v12
	v_pk_add_f32 v[14:15], v[18:19], v[16:17]
	v_ldexp_f32 v7, v7, 1
	v_mov_b32_e32 v20, v15
	v_pk_mul_f32 v[22:23], v[14:15], v[20:21]
	v_sub_f32_e32 v9, v14, v18
	v_sub_f32_e32 v11, v17, v15
	;; [unrolled: 1-line block ×3, first 2 shown]
	v_add_f32_e32 v11, v21, v11
	v_fma_f32 v16, v14, v15, -v22
	v_fmac_f32_e32 v16, v14, v11
	v_fmac_f32_e32 v16, v9, v15
	v_add_f32_e32 v9, v22, v16
	v_ldexp_f32 v11, v12, 1
	v_pk_add_f32 v[12:13], v[8:9], v[10:11]
	v_mov_b32_e32 v18, v9
	v_mov_b32_e32 v19, v13
	;; [unrolled: 1-line block ×4, first 2 shown]
	v_pk_add_f32 v[18:19], v[18:19], v[22:23] neg_lo:[0,1] neg_hi:[0,1]
	v_mov_b32_e32 v15, v12
	v_pk_add_f32 v[16:17], v[16:17], v[18:19] neg_lo:[0,1] neg_hi:[0,1]
	s_mov_b32 s39, 0x3fb8aa3b
	v_add_f32_e32 v7, v7, v16
	v_add_f32_e32 v9, v7, v17
	v_pk_add_f32 v[16:17], v[12:13], v[8:9] neg_lo:[0,1] neg_hi:[0,1]
	v_pk_add_f32 v[18:19], v[12:13], v[8:9]
	v_mov_b32_e32 v20, v16
	v_mov_b32_e32 v21, v19
	v_pk_add_f32 v[20:21], v[14:15], v[20:21]
	v_pk_add_f32 v[10:11], v[10:11], v[16:17] neg_lo:[0,1] neg_hi:[0,1]
	v_mov_b32_e32 v8, v21
	v_pk_add_f32 v[16:17], v[8:9], v[12:13] neg_lo:[0,1] neg_hi:[0,1]
	v_mov_b32_e32 v20, v19
	v_mov_b32_e32 v7, v16
	;; [unrolled: 1-line block ×4, first 2 shown]
	v_pk_add_f32 v[22:23], v[18:19], v[6:7] neg_lo:[0,1] neg_hi:[0,1]
	v_mov_b32_e32 v14, v9
	v_pk_add_f32 v[12:13], v[20:21], v[12:13] neg_lo:[0,1] neg_hi:[0,1]
	v_mov_b32_e32 v22, v10
	;; [unrolled: 2-line block ×3, first 2 shown]
	v_pk_add_f32 v[14:15], v[22:23], v[12:13]
	v_mov_b32_e32 v20, 0x37000000
	v_mov_b32_e32 v16, v15
	v_pk_add_f32 v[16:17], v[14:15], v[16:17]
	s_mov_b32 s40, 0xc2ce8ed0
	v_pk_add_f32 v[8:9], v[8:9], v[16:17]
	v_mov_b32_e32 v13, v16
	v_mov_b32_e32 v15, v8
	v_pk_add_f32 v[16:17], v[14:15], v[10:11] neg_lo:[0,1] neg_hi:[0,1]
	s_and_b64 s[6:7], s[4:5], s[6:7]
	v_sub_f32_e32 v7, v14, v16
	v_pk_add_f32 v[12:13], v[12:13], v[16:17] neg_lo:[0,1] neg_hi:[0,1]
	v_sub_f32_e32 v7, v10, v7
	v_add_f32_e32 v7, v12, v7
	v_add_f32_e32 v7, v7, v13
	;; [unrolled: 1-line block ×3, first 2 shown]
	v_mul_f32_e32 v10, v6, v9
	v_sub_f32_e32 v8, v9, v8
	v_sub_f32_e32 v7, v7, v8
	v_fma_f32 v8, v6, v9, -v10
	v_fmac_f32_e32 v8, v6, v7
	v_add_f32_e32 v6, v10, v8
	v_cmp_class_f32_e64 s[8:9], v10, s36
	s_brev_b32 s38, -2
	v_mov_b32_e32 v2, 0x7fc00000
	v_cndmask_b32_e64 v7, v6, v10, s[8:9]
	v_cmp_eq_f32_e64 s[8:9], s37, v7
	v_sub_f32_e32 v6, v6, v10
	v_sub_f32_e32 v6, v8, v6
	v_cndmask_b32_e64 v9, 0, v20, s[8:9]
	v_sub_f32_e32 v11, v7, v9
	v_mul_f32_e32 v12, 0x3fb8aa3b, v11
	v_fma_f32 v13, v11, s39, -v12
	v_rndne_f32_e32 v14, v12
	v_fmac_f32_e32 v13, 0x32a5705f, v11
	v_sub_f32_e32 v12, v12, v14
	v_add_f32_e32 v12, v12, v13
	v_exp_f32_e32 v12, v12
	v_cvt_i32_f32_e32 v13, v14
	v_cmp_ngt_f32_e64 s[8:9], s40, v11
	v_cndmask_b32_e64 v14, 0, v4, s[6:7]
	v_bfi_b32 v5, s38, v5, v14
	v_ldexp_f32 v12, v12, v13
	v_cndmask_b32_e64 v12, 0, v12, s[8:9]
	v_cmp_nlt_f32_e64 s[8:9], s37, v11
	s_or_b64 vcc, s[2:3], vcc
	s_mov_b32 s18, 0xf800000
	v_cndmask_b32_e64 v11, v1, v12, s[8:9]
	v_cmp_neq_f32_e64 s[8:9], |v7|, s33
	v_cndmask_b32_e64 v7, 1.0, v4, s[6:7]
	s_load_dwordx8 s[20:27], s[0:1], 0x0
	s_load_dword s34, s[0:1], 0x50
	v_cndmask_b32_e64 v6, 0, v6, s[8:9]
	v_add_f32_e32 v6, v9, v6
	v_fma_f32 v6, v11, v6, v11
	v_cmp_class_f32_e64 s[8:9], v11, s36
	v_mov_b32_e32 v34, 0x260
	v_sub_f32_e64 v51, 1.0, s14
	v_cndmask_b32_e64 v6, v6, v11, s[8:9]
	v_bfi_b32 v6, s38, v6, v7
	v_cndmask_b32_e64 v7, v2, v6, s[4:5]
	v_cmp_gt_f32_e64 s[4:5], 0, v4
	v_sub_f32_e64 v52, 1.0, s13
                                        ; implicit-def: $vgpr25
                                        ; implicit-def: $vgpr26
                                        ; implicit-def: $vgpr27
                                        ; implicit-def: $vgpr57
                                        ; implicit-def: $vgpr59
                                        ; implicit-def: $vgpr60
                                        ; implicit-def: $vgpr61
	s_nop 0
	v_cndmask_b32_e64 v6, v6, v7, s[4:5]
	v_cndmask_b32_e32 v5, v6, v5, vcc
	v_sub_f32_e32 v5, 1.0, v5
	v_cmp_o_f32_e32 vcc, v4, v4
	v_mov_b32_e32 v7, 0x3ecccdef
	s_nop 0
	v_cndmask_b32_e32 v4, v2, v5, vcc
	v_mul_f32_e32 v5, 0x4f800000, v4
	v_cmp_gt_f32_e32 vcc, s18, v4
	s_nop 1
	v_cndmask_b32_e32 v4, v4, v5, vcc
	v_sqrt_f32_e32 v5, v4
	s_nop 0
	v_add_u32_e32 v6, -1, v5
	v_fma_f32 v8, -v6, v5, v4
	v_cmp_ge_f32_e64 s[0:1], 0, v8
	v_add_u32_e32 v8, 1, v5
	s_nop 0
	v_cndmask_b32_e64 v6, v5, v6, s[0:1]
	v_fma_f32 v5, -v8, v5, v4
	v_cmp_lt_f32_e64 s[0:1], 0, v5
	s_nop 1
	v_cndmask_b32_e64 v5, v6, v8, s[0:1]
	v_mul_f32_e32 v6, 0x37800000, v5
	v_cndmask_b32_e32 v5, v5, v6, vcc
	v_cmp_class_f32_e32 vcc, v4, v34
	s_nop 1
	v_cndmask_b32_e32 v35, v5, v4, vcc
	v_cmp_neq_f32_e64 vcc, s12, 1.0
	s_nop 1
	v_cndmask_b32_e32 v21, 1.0, v3, vcc
	v_mov_b32_e32 v3, s12
	v_cmp_eq_f32_e32 vcc, 0, v21
	v_cmp_gt_f32_e64 s[2:3], 0, v21
	v_trunc_f32_e32 v4, v21
	v_cndmask_b32_e64 v22, v3, 1.0, vcc
	v_cmp_eq_f32_e64 s[0:1], 0, v22
	v_cndmask_b32_e64 v3, |v3|, 1.0, vcc
	s_xor_b64 s[2:3], s[2:3], s[0:1]
	v_cmp_eq_f32_e32 vcc, s33, v3
	v_cndmask_b32_e64 v23, v1, 0, s[2:3]
	v_cmp_eq_f32_e64 s[2:3], v4, v21
	v_cvt_f64_f32_e32 v[4:5], v3
	v_frexp_mant_f32_e32 v3, v3
	v_frexp_exp_i32_f64_e32 v4, v[4:5]
	v_cmp_gt_f32_e64 s[6:7], s42, v3
	s_or_b64 vcc, vcc, s[0:1]
	s_load_dword s0, s[10:11], 0x0
	v_subbrev_co_u32_e64 v4, s[4:5], 0, v4, s[6:7]
	v_cvt_f32_i32_e32 v5, v4
	v_mul_f32_e32 v4, 0.5, v21
	v_trunc_f32_e32 v6, v4
	v_cmp_neq_f32_e64 s[4:5], v6, v4
	v_cndmask_b32_e64 v6, 1.0, 2.0, s[6:7]
	v_mul_f32_e32 v3, v3, v6
	v_add_f32_e32 v8, 1.0, v3
	v_rcp_f32_e32 v16, v8
	v_mul_f32_e32 v4, 0x3f317218, v5
	v_fma_f32 v6, v5, s41, -v4
	v_add_f32_e32 v9, -1.0, v3
	v_fmac_f32_e32 v6, 0xb102e308, v5
	v_mul_f32_e32 v5, v9, v16
	v_mul_f32_e32 v10, v8, v5
	v_add_f32_e32 v11, -1.0, v8
	v_sub_f32_e32 v3, v3, v11
	v_fma_f32 v12, v5, v8, -v10
	v_fmac_f32_e32 v12, v5, v3
	v_add_f32_e32 v8, v10, v12
	v_sub_f32_e32 v11, v9, v8
	v_pk_add_f32 v[14:15], v[8:9], v[10:11] neg_lo:[0,1] neg_hi:[0,1]
	v_mov_b32_e32 v13, v8
	v_pk_add_f32 v[8:9], v[14:15], v[12:13] neg_lo:[0,1] neg_hi:[0,1]
	s_and_b64 s[4:5], s[2:3], s[4:5]
	v_add_f32_e32 v3, v8, v9
	v_add_f32_e32 v3, v11, v3
	v_mul_f32_e32 v3, v16, v3
	v_add_f32_e32 v8, v5, v3
	v_sub_f32_e32 v5, v8, v5
	v_sub_f32_e32 v3, v3, v5
	v_mul_f32_e32 v9, v8, v8
	v_add_f32_e32 v5, v3, v3
	v_fma_f32 v11, v8, v8, -v9
	v_fmac_f32_e32 v11, v8, v5
	v_add_f32_e32 v10, v9, v11
	v_fmac_f32_e32 v24, 0x3e76c4e1, v10
	v_fmac_f32_e32 v7, v10, v24
	v_sub_f32_e32 v5, v10, v9
	v_mul_f32_e32 v9, v10, v7
	v_sub_f32_e32 v5, v11, v5
	v_fma_f32 v11, v10, v7, -v9
	v_fmac_f32_e32 v11, v5, v7
	v_add_f32_e32 v7, v9, v11
	v_sub_f32_e32 v9, v7, v9
	v_add_f32_e32 v13, 0x3f2aaaaa, v7
	v_sub_f32_e32 v9, v11, v9
	v_add_f32_e32 v11, 0xbf2aaaaa, v13
	v_add_f32_e32 v9, 0x31739010, v9
	v_sub_f32_e32 v11, v7, v11
	v_pk_mul_f32 v[14:15], v[8:9], v[10:11]
	v_pk_add_f32 v[16:17], v[8:9], v[10:11]
	v_fma_f32 v12, v10, v8, -v14
	v_fmac_f32_e32 v12, v10, v3
	v_mov_b32_e32 v15, v17
	v_fmac_f32_e32 v12, v5, v8
	v_pk_add_f32 v[10:11], v[14:15], v[12:13]
	v_ldexp_f32 v3, v3, 1
	v_mov_b32_e32 v16, v11
	v_pk_mul_f32 v[18:19], v[10:11], v[16:17]
	v_sub_f32_e32 v5, v10, v14
	v_sub_f32_e32 v7, v13, v11
	;; [unrolled: 1-line block ×3, first 2 shown]
	v_add_f32_e32 v7, v17, v7
	v_fma_f32 v12, v10, v11, -v18
	v_fmac_f32_e32 v12, v10, v7
	v_fmac_f32_e32 v12, v5, v11
	v_add_f32_e32 v5, v18, v12
	v_ldexp_f32 v7, v8, 1
	v_pk_add_f32 v[8:9], v[4:5], v[6:7]
	v_mov_b32_e32 v14, v5
	v_mov_b32_e32 v15, v9
	;; [unrolled: 1-line block ×4, first 2 shown]
	v_pk_add_f32 v[14:15], v[14:15], v[18:19] neg_lo:[0,1] neg_hi:[0,1]
	v_mov_b32_e32 v11, v8
	v_pk_add_f32 v[12:13], v[12:13], v[14:15] neg_lo:[0,1] neg_hi:[0,1]
                                        ; implicit-def: $vgpr24
	s_nop 0
	v_add_f32_e32 v3, v3, v12
	v_add_f32_e32 v5, v3, v13
	v_pk_add_f32 v[12:13], v[8:9], v[4:5] neg_lo:[0,1] neg_hi:[0,1]
	v_pk_add_f32 v[14:15], v[8:9], v[4:5]
	v_mov_b32_e32 v16, v12
	v_mov_b32_e32 v17, v15
	v_pk_add_f32 v[16:17], v[10:11], v[16:17]
	v_pk_add_f32 v[6:7], v[6:7], v[12:13] neg_lo:[0,1] neg_hi:[0,1]
	v_mov_b32_e32 v4, v17
	v_pk_add_f32 v[12:13], v[4:5], v[8:9] neg_lo:[0,1] neg_hi:[0,1]
	v_mov_b32_e32 v16, v15
	v_mov_b32_e32 v3, v12
	v_mov_b32_e32 v8, v9
	v_mov_b32_e32 v9, v12
	v_pk_add_f32 v[18:19], v[14:15], v[2:3] neg_lo:[0,1] neg_hi:[0,1]
	v_mov_b32_e32 v10, v5
	v_pk_add_f32 v[8:9], v[16:17], v[8:9] neg_lo:[0,1] neg_hi:[0,1]
	v_mov_b32_e32 v18, v6
	;; [unrolled: 2-line block ×3, first 2 shown]
	v_pk_add_f32 v[10:11], v[18:19], v[8:9]
	s_nop 0
	v_mov_b32_e32 v12, v11
	v_pk_add_f32 v[12:13], v[10:11], v[12:13]
	s_nop 0
	v_pk_add_f32 v[4:5], v[4:5], v[12:13]
	v_mov_b32_e32 v9, v12
	v_mov_b32_e32 v11, v4
	v_pk_add_f32 v[12:13], v[10:11], v[6:7] neg_lo:[0,1] neg_hi:[0,1]
	s_nop 0
	v_sub_f32_e32 v3, v10, v12
	v_pk_add_f32 v[8:9], v[8:9], v[12:13] neg_lo:[0,1] neg_hi:[0,1]
	v_sub_f32_e32 v3, v6, v3
	v_add_f32_e32 v3, v8, v3
	v_add_f32_e32 v3, v3, v9
	;; [unrolled: 1-line block ×3, first 2 shown]
	v_mul_f32_e32 v6, v21, v5
	v_sub_f32_e32 v4, v5, v4
	v_sub_f32_e32 v3, v3, v4
	v_fma_f32 v4, v21, v5, -v6
	v_fmac_f32_e32 v4, v21, v3
	v_add_f32_e32 v3, v6, v4
	v_cmp_class_f32_e64 s[6:7], v6, s36
	v_mov_b32_e32 v13, 0
	s_nop 0
	v_cndmask_b32_e64 v5, v3, v6, s[6:7]
	v_cmp_eq_f32_e64 s[6:7], s37, v5
	v_sub_f32_e32 v3, v3, v6
	v_sub_f32_e32 v3, v4, v3
	v_cndmask_b32_e64 v7, 0, v20, s[6:7]
	v_sub_f32_e32 v8, v5, v7
	v_mul_f32_e32 v9, 0x3fb8aa3b, v8
	v_fma_f32 v10, v8, s39, -v9
	v_rndne_f32_e32 v11, v9
	v_fmac_f32_e32 v10, 0x32a5705f, v8
	v_sub_f32_e32 v9, v9, v11
	v_add_f32_e32 v9, v9, v10
	v_exp_f32_e32 v9, v9
	v_cvt_i32_f32_e32 v10, v11
	v_cmp_ngt_f32_e64 s[6:7], s40, v8
	v_cndmask_b32_e64 v11, 0, v22, s[4:5]
	v_bfi_b32 v11, s38, v23, v11
	v_ldexp_f32 v9, v9, v10
	v_cndmask_b32_e64 v9, 0, v9, s[6:7]
	v_cmp_nlt_f32_e64 s[6:7], s37, v8
	s_nop 1
	v_cndmask_b32_e64 v1, v1, v9, s[6:7]
	v_cmp_neq_f32_e64 s[6:7], |v5|, s33
	v_mov_b32_e32 v5, v13
	s_nop 0
	v_cndmask_b32_e64 v3, 0, v3, s[6:7]
	v_add_f32_e32 v3, v7, v3
	v_fma_f32 v3, v1, v3, v1
	v_cmp_class_f32_e64 s[6:7], v1, s36
	v_mov_b32_e32 v7, v13
	s_nop 0
	v_cndmask_b32_e64 v1, v3, v1, s[6:7]
	v_cndmask_b32_e64 v3, 1.0, v22, s[4:5]
	v_bfi_b32 v1, s38, v1, v3
	v_cndmask_b32_e64 v3, v2, v1, s[2:3]
	v_cmp_gt_f32_e64 s[2:3], 0, v22
	s_nop 1
	v_cndmask_b32_e64 v1, v1, v3, s[2:3]
	v_cndmask_b32_e32 v1, v1, v11, vcc
	v_sub_f32_e32 v1, 1.0, v1
	v_cmp_o_f32_e32 vcc, v22, v22
	s_nop 1
	v_cndmask_b32_e32 v36, v2, v1, vcc
	v_mbcnt_lo_u32_b32 v1, -1, 0
	v_lshlrev_b32_e32 v2, 2, v0
	v_mbcnt_hi_u32_b32 v1, -1, v1
	v_and_b32_e32 v6, 0xf00, v2
	v_lshlrev_b32_e32 v12, 1, v1
	v_or_b32_e32 v37, v1, v6
	s_waitcnt lgkmcnt(0)
	v_lshl_add_u64 v[2:3], s[20:21], 0, v[12:13]
	v_lshlrev_b32_e32 v4, 1, v6
	v_add_u32_e32 v38, 64, v37
	v_lshrrev_b32_e32 v8, 5, v37
	v_and_b32_e32 v0, 0x3c0, v0
	v_lshl_add_u64 v[14:15], v[2:3], 0, v[4:5]
	v_or_b32_e32 v39, 0x80, v37
	v_and_b32_e32 v2, 0x7a, v8
	v_lshrrev_b32_e32 v9, 5, v38
	v_add_u32_e32 v0, v1, v0
	v_add_u32_e32 v40, 0xc0, v37
	v_add_lshl_u32 v41, v2, v37, 1
	v_and_b32_e32 v2, 0x7e, v9
	v_lshrrev_b32_e32 v10, 5, v39
	v_bfe_u32 v19, v0, 3, 27
	v_add_lshl_u32 v42, v2, v38, 1
	v_and_b32_e32 v2, 0x7e, v10
	v_lshrrev_b32_e32 v11, 5, v40
	v_lshlrev_b32_e32 v18, 2, v0
	v_and_b32_e32 v0, 0xfe, v19
	v_add_lshl_u32 v43, v2, v39, 1
	v_and_b32_e32 v2, 0xfe, v11
	v_add_lshl_u32 v45, v0, v18, 1
	v_lshlrev_b32_e32 v0, 2, v1
	v_mov_b32_e32 v1, v13
	v_add_lshl_u32 v44, v2, v40, 1
	v_lshl_add_u64 v[2:3], s[24:25], 0, v[0:1]
	v_lshlrev_b32_e32 v6, 2, v6
	v_lshl_add_u64 v[0:1], s[26:27], 0, v[0:1]
	v_add_lshl_u32 v50, v19, v18, 2
	v_lshl_add_u64 v[18:19], v[0:1], 0, v[6:7]
	v_lshl_add_u64 v[0:1], s[22:23], 0, v[12:13]
	;; [unrolled: 1-line block ×3, first 2 shown]
	v_mov_b32_e32 v0, s19
	v_cmp_gt_f32_e64 s[20:21], s17, 0
	v_fma_f32 v53, -s17, v0, 1.0
	s_lshl_b32 s17, s0, 12
	s_lshl_b32 s0, s35, 2
	v_lshl_add_u64 v[16:17], v[2:3], 0, v[6:7]
	v_add_lshl_u32 v46, v8, v37, 2
	v_add_lshl_u32 v47, v9, v38, 2
	;; [unrolled: 1-line block ×4, first 2 shown]
	v_sub_f32_e64 v12, 1.0, s12
	s_sub_i32 s22, 0, s0
	s_movk_i32 s23, 0x7fff
	s_mov_b32 s24, 0x7060302
                                        ; implicit-def: $vgpr8_vgpr9_vgpr10_vgpr11
                                        ; implicit-def: $vgpr4_vgpr5_vgpr6_vgpr7
                                        ; implicit-def: $vgpr0_vgpr1_vgpr2_vgpr3
	s_branch .LBB73_3
.LBB73_2:                               ;   in Loop: Header=BB73_3 Depth=1
	s_or_b64 exec, exec, s[0:1]
	s_add_i32 s28, s28, s17
	s_sub_i32 s22, s22, s17
	v_lshrrev_b32_e32 v24, 16, v33
	v_lshrrev_b32_e32 v25, 16, v55
	;; [unrolled: 1-line block ×3, first 2 shown]
	s_cmp_ge_u32 s28, s31
	v_lshrrev_b32_e32 v27, 16, v54
	s_cbranch_scc1 .LBB73_131
.LBB73_3:                               ; =>This Inner Loop Header: Depth=1
	s_add_i32 s0, s30, s22
	s_min_u32 s8, s0, 0x1000
	v_lshl_add_u64 v[22:23], s[28:29], 1, v[14:15]
	v_cmp_gt_u32_e64 s[0:1], s8, v37
	s_barrier
	s_and_saveexec_b64 s[2:3], s[0:1]
	s_cbranch_execnz .LBB73_57
; %bb.4:                                ;   in Loop: Header=BB73_3 Depth=1
	s_or_b64 exec, exec, s[2:3]
	v_cmp_gt_u32_e64 s[2:3], s8, v38
	s_and_saveexec_b64 s[4:5], s[2:3]
	s_cbranch_execnz .LBB73_58
.LBB73_5:                               ;   in Loop: Header=BB73_3 Depth=1
	s_or_b64 exec, exec, s[4:5]
	v_cmp_gt_u32_e64 s[4:5], s8, v39
	s_and_saveexec_b64 s[6:7], s[4:5]
	s_cbranch_execnz .LBB73_59
.LBB73_6:                               ;   in Loop: Header=BB73_3 Depth=1
	s_or_b64 exec, exec, s[6:7]
	v_cmp_gt_u32_e64 s[6:7], s8, v40
	s_and_saveexec_b64 s[8:9], s[6:7]
	s_cbranch_execz .LBB73_8
.LBB73_7:                               ;   in Loop: Header=BB73_3 Depth=1
	global_load_ushort v24, v[22:23], off offset:384
.LBB73_8:                               ;   in Loop: Header=BB73_3 Depth=1
	s_or_b64 exec, exec, s[8:9]
	s_waitcnt vmcnt(0)
	ds_write_b16 v41, v27
	ds_write_b16 v42, v26
	;; [unrolled: 1-line block ×4, first 2 shown]
	; wave barrier
	ds_read_b64 v[32:33], v45
	v_lshl_add_u64 v[22:23], s[28:29], 2, v[16:17]
	s_waitcnt lgkmcnt(0)
	s_barrier
	s_and_saveexec_b64 s[8:9], s[0:1]
	s_cbranch_execnz .LBB73_60
; %bb.9:                                ;   in Loop: Header=BB73_3 Depth=1
	s_or_b64 exec, exec, s[8:9]
	s_and_saveexec_b64 s[8:9], s[2:3]
	s_cbranch_execnz .LBB73_61
.LBB73_10:                              ;   in Loop: Header=BB73_3 Depth=1
	s_or_b64 exec, exec, s[8:9]
	s_and_saveexec_b64 s[8:9], s[4:5]
	s_cbranch_execnz .LBB73_62
.LBB73_11:                              ;   in Loop: Header=BB73_3 Depth=1
	s_or_b64 exec, exec, s[8:9]
	s_and_saveexec_b64 s[8:9], s[6:7]
	s_cbranch_execz .LBB73_13
.LBB73_12:                              ;   in Loop: Header=BB73_3 Depth=1
	global_load_dword v11, v[22:23], off offset:768
.LBB73_13:                              ;   in Loop: Header=BB73_3 Depth=1
	s_or_b64 exec, exec, s[8:9]
	s_waitcnt vmcnt(0)
	ds_write_b32 v46, v8
	ds_write_b32 v47, v9
	;; [unrolled: 1-line block ×4, first 2 shown]
	; wave barrier
	ds_read2_b32 v[28:29], v50 offset1:1
	ds_read2_b32 v[8:9], v50 offset0:2 offset1:3
	v_lshl_add_u64 v[24:25], s[28:29], 2, v[18:19]
	s_waitcnt lgkmcnt(0)
	s_barrier
	s_and_saveexec_b64 s[8:9], s[0:1]
	s_cbranch_execnz .LBB73_63
; %bb.14:                               ;   in Loop: Header=BB73_3 Depth=1
	s_or_b64 exec, exec, s[8:9]
	s_and_saveexec_b64 s[8:9], s[2:3]
	s_cbranch_execnz .LBB73_64
.LBB73_15:                              ;   in Loop: Header=BB73_3 Depth=1
	s_or_b64 exec, exec, s[8:9]
	s_and_saveexec_b64 s[8:9], s[4:5]
	s_cbranch_execnz .LBB73_65
.LBB73_16:                              ;   in Loop: Header=BB73_3 Depth=1
	s_or_b64 exec, exec, s[8:9]
	s_and_saveexec_b64 s[8:9], s[6:7]
	s_cbranch_execz .LBB73_18
.LBB73_17:                              ;   in Loop: Header=BB73_3 Depth=1
	global_load_dword v7, v[24:25], off offset:768
.LBB73_18:                              ;   in Loop: Header=BB73_3 Depth=1
	s_or_b64 exec, exec, s[8:9]
	s_waitcnt vmcnt(0)
	ds_write_b32 v46, v4
	ds_write_b32 v47, v5
	;; [unrolled: 1-line block ×4, first 2 shown]
	; wave barrier
	ds_read2_b32 v[30:31], v50 offset1:1
	ds_read2_b32 v[10:11], v50 offset0:2 offset1:3
	v_lshl_add_u64 v[4:5], s[28:29], 1, v[20:21]
	s_waitcnt lgkmcnt(0)
	s_barrier
	s_and_saveexec_b64 s[8:9], s[0:1]
	s_cbranch_execnz .LBB73_66
; %bb.19:                               ;   in Loop: Header=BB73_3 Depth=1
	s_or_b64 exec, exec, s[8:9]
	s_and_saveexec_b64 s[8:9], s[2:3]
	s_cbranch_execnz .LBB73_67
.LBB73_20:                              ;   in Loop: Header=BB73_3 Depth=1
	s_or_b64 exec, exec, s[8:9]
	s_and_saveexec_b64 s[8:9], s[4:5]
	s_cbranch_execnz .LBB73_68
.LBB73_21:                              ;   in Loop: Header=BB73_3 Depth=1
	s_or_b64 exec, exec, s[8:9]
	s_and_saveexec_b64 s[8:9], s[6:7]
	s_cbranch_execz .LBB73_23
.LBB73_22:                              ;   in Loop: Header=BB73_3 Depth=1
	global_load_ushort v57, v[4:5], off offset:384
.LBB73_23:                              ;   in Loop: Header=BB73_3 Depth=1
	s_or_b64 exec, exec, s[8:9]
	s_waitcnt vmcnt(0)
	ds_write_b16 v41, v61
	ds_write_b16 v42, v60
	;; [unrolled: 1-line block ×4, first 2 shown]
	; wave barrier
	ds_read_b64 v[6:7], v45
	s_add_i32 s8, s30, s28
	s_mov_b32 s9, s29
	v_lshl_add_u64 v[26:27], s[8:9], 2, v[16:17]
	s_waitcnt lgkmcnt(0)
	s_barrier
	s_and_saveexec_b64 s[8:9], s[0:1]
	s_cbranch_execnz .LBB73_69
; %bb.24:                               ;   in Loop: Header=BB73_3 Depth=1
	s_or_b64 exec, exec, s[8:9]
	s_and_saveexec_b64 s[8:9], s[2:3]
	s_cbranch_execnz .LBB73_70
.LBB73_25:                              ;   in Loop: Header=BB73_3 Depth=1
	s_or_b64 exec, exec, s[8:9]
	s_and_saveexec_b64 s[8:9], s[4:5]
	s_cbranch_execnz .LBB73_71
.LBB73_26:                              ;   in Loop: Header=BB73_3 Depth=1
	s_or_b64 exec, exec, s[8:9]
	s_and_saveexec_b64 s[8:9], s[6:7]
	s_cbranch_execz .LBB73_28
.LBB73_27:                              ;   in Loop: Header=BB73_3 Depth=1
	global_load_dword v3, v[26:27], off offset:768
.LBB73_28:                              ;   in Loop: Header=BB73_3 Depth=1
	s_or_b64 exec, exec, s[8:9]
	s_waitcnt vmcnt(0)
	ds_write_b32 v46, v0
	ds_write_b32 v47, v1
	;; [unrolled: 1-line block ×4, first 2 shown]
	; wave barrier
	ds_read2_b32 v[2:3], v50 offset1:1
	ds_read2_b32 v[0:1], v50 offset0:2 offset1:3
	v_lshlrev_b32_e32 v54, 16, v32
	v_mul_f32_e32 v55, s34, v54
	v_and_b32_e32 v54, 0x7f800000, v55
	v_cmp_ne_u32_e32 vcc, s33, v54
                                        ; implicit-def: $vgpr54
	s_and_saveexec_b64 s[8:9], vcc
	s_xor_b64 s[8:9], exec, s[8:9]
; %bb.29:                               ;   in Loop: Header=BB73_3 Depth=1
	v_bfe_u32 v54, v55, 16, 1
	v_add3_u32 v54, v55, v54, s23
                                        ; implicit-def: $vgpr55
; %bb.30:                               ;   in Loop: Header=BB73_3 Depth=1
	s_andn2_saveexec_b64 s[8:9], s[8:9]
; %bb.31:                               ;   in Loop: Header=BB73_3 Depth=1
	v_or_b32_e32 v54, 0x10000, v55
	v_cmp_eq_u32_sdwa vcc, v55, v13 src0_sel:WORD_0 src1_sel:DWORD
	s_nop 1
	v_cndmask_b32_e32 v54, v54, v55, vcc
; %bb.32:                               ;   in Loop: Header=BB73_3 Depth=1
	s_or_b64 exec, exec, s[8:9]
	v_and_b32_e32 v32, 0xffff0000, v32
	v_mul_f32_e32 v55, s34, v32
	v_and_b32_e32 v32, 0x7f800000, v55
	v_cmp_ne_u32_e32 vcc, s33, v32
                                        ; implicit-def: $vgpr32
	s_and_saveexec_b64 s[8:9], vcc
	s_xor_b64 s[8:9], exec, s[8:9]
; %bb.33:                               ;   in Loop: Header=BB73_3 Depth=1
	v_bfe_u32 v32, v55, 16, 1
	v_add3_u32 v32, v55, v32, s23
                                        ; implicit-def: $vgpr55
; %bb.34:                               ;   in Loop: Header=BB73_3 Depth=1
	s_andn2_saveexec_b64 s[8:9], s[8:9]
; %bb.35:                               ;   in Loop: Header=BB73_3 Depth=1
	v_or_b32_e32 v32, 0x10000, v55
	v_cmp_eq_u32_sdwa vcc, v55, v13 src0_sel:WORD_0 src1_sel:DWORD
	s_nop 1
	v_cndmask_b32_e32 v32, v32, v55, vcc
; %bb.36:                               ;   in Loop: Header=BB73_3 Depth=1
	s_or_b64 exec, exec, s[8:9]
	v_lshlrev_b32_e32 v55, 16, v33
	v_mul_f32_e32 v56, s34, v55
	v_and_b32_e32 v55, 0x7f800000, v56
	v_cmp_ne_u32_e32 vcc, s33, v55
                                        ; implicit-def: $vgpr55
	s_and_saveexec_b64 s[8:9], vcc
	s_xor_b64 s[8:9], exec, s[8:9]
; %bb.37:                               ;   in Loop: Header=BB73_3 Depth=1
	v_bfe_u32 v55, v56, 16, 1
	v_add3_u32 v55, v56, v55, s23
                                        ; implicit-def: $vgpr56
; %bb.38:                               ;   in Loop: Header=BB73_3 Depth=1
	s_andn2_saveexec_b64 s[8:9], s[8:9]
; %bb.39:                               ;   in Loop: Header=BB73_3 Depth=1
	v_or_b32_e32 v55, 0x10000, v56
	v_cmp_eq_u32_sdwa vcc, v56, v13 src0_sel:WORD_0 src1_sel:DWORD
	s_nop 1
	v_cndmask_b32_e32 v55, v55, v56, vcc
; %bb.40:                               ;   in Loop: Header=BB73_3 Depth=1
	s_or_b64 exec, exec, s[8:9]
	v_and_b32_e32 v33, 0xffff0000, v33
	v_mul_f32_e32 v56, s34, v33
	v_and_b32_e32 v33, 0x7f800000, v56
	v_cmp_ne_u32_e32 vcc, s33, v33
                                        ; implicit-def: $vgpr33
	s_and_saveexec_b64 s[8:9], vcc
	s_xor_b64 s[8:9], exec, s[8:9]
; %bb.41:                               ;   in Loop: Header=BB73_3 Depth=1
	v_bfe_u32 v33, v56, 16, 1
	v_add3_u32 v33, v56, v33, s23
                                        ; implicit-def: $vgpr56
; %bb.42:                               ;   in Loop: Header=BB73_3 Depth=1
	s_andn2_saveexec_b64 s[8:9], s[8:9]
; %bb.43:                               ;   in Loop: Header=BB73_3 Depth=1
	v_or_b32_e32 v33, 0x10000, v56
	v_cmp_eq_u32_sdwa vcc, v56, v13 src0_sel:WORD_0 src1_sel:DWORD
	s_nop 1
	v_cndmask_b32_e32 v33, v33, v56, vcc
; %bb.44:                               ;   in Loop: Header=BB73_3 Depth=1
	s_or_b64 exec, exec, s[8:9]
	v_and_b32_e32 v57, 0xffff0000, v54
	v_mul_f32_e32 v56, v52, v57
	v_mul_f32_e32 v56, v56, v57
	v_fmac_f32_e32 v56, s13, v30
	v_mul_f32_e32 v30, 0x4f800000, v56
	v_cmp_gt_f32_e32 vcc, s18, v56
	s_nop 1
	v_cndmask_b32_e32 v58, v56, v30, vcc
	v_sqrt_f32_e32 v59, v58
	v_mul_f32_e32 v30, v12, v57
	v_fmac_f32_e32 v30, s12, v28
	v_add_u32_e32 v28, -1, v59
	v_fma_f32 v60, -v28, v59, v58
	v_cmp_ge_f32_e64 s[8:9], 0, v60
	v_add_u32_e32 v60, 1, v59
	s_nop 0
	v_cndmask_b32_e64 v28, v59, v28, s[8:9]
	v_fma_f32 v59, -v60, v59, v58
	v_cmp_lt_f32_e64 s[8:9], 0, v59
	s_nop 1
	v_cndmask_b32_e64 v28, v28, v60, s[8:9]
	v_mul_f32_e32 v59, 0x37800000, v28
	v_cndmask_b32_e32 v28, v28, v59, vcc
	v_cmp_class_f32_e32 vcc, v58, v34
	s_nop 1
	v_cndmask_b32_e32 v59, v28, v58, vcc
	v_div_scale_f32 v60, s[8:9], v35, v35, v59
	v_rcp_f32_e32 v61, v60
	v_mul_f32_e32 v28, v51, v57
	s_waitcnt lgkmcnt(1)
	v_fmac_f32_e32 v28, s14, v2
	v_mul_f32_e32 v58, s15, v28
	v_fma_f32 v2, -v60, v61, 1.0
	v_fmac_f32_e32 v61, v2, v61
	v_div_scale_f32 v2, vcc, v59, v35, v59
	v_mul_f32_e32 v57, v2, v61
	v_fma_f32 v62, -v60, v57, v2
	v_fmac_f32_e32 v57, v62, v61
	v_fma_f32 v2, -v60, v57, v2
	v_div_scale_f32 v60, s[8:9], v36, v36, v30
	v_rcp_f32_e32 v62, v60
	v_div_fmas_f32 v2, v2, v61, v57
	v_div_fixup_f32 v61, v2, v35, v59
	v_fma_f32 v2, -v60, v62, 1.0
	v_fmac_f32_e32 v62, v2, v62
	v_div_scale_f32 v2, vcc, v30, v36, v30
	v_mul_f32_e32 v57, v2, v62
	v_fma_f32 v59, -v60, v57, v2
	v_fmac_f32_e32 v57, v59, v62
	v_fma_f32 v2, -v60, v57, v2
	v_div_fmas_f32 v2, v2, v62, v57
	v_div_fixup_f32 v60, v2, v36, v30
	v_mov_b32_e32 v59, s16
	v_pk_add_f32 v[58:59], v[60:61], v[58:59]
	v_lshlrev_b32_e32 v60, 16, v6
	v_div_scale_f32 v2, s[8:9], v59, v59, v58
	v_rcp_f32_e32 v57, v2
	s_nop 0
	v_fma_f32 v61, -v2, v57, 1.0
	v_fmac_f32_e32 v57, v61, v57
	v_div_scale_f32 v61, vcc, v58, v59, v58
	v_mul_f32_e32 v62, v61, v57
	v_fma_f32 v63, -v2, v62, v61
	v_fmac_f32_e32 v62, v63, v57
	v_fma_f32 v2, -v2, v62, v61
	v_div_fmas_f32 v2, v2, v57, v62
	v_div_fixup_f32 v2, v2, v59, v58
	v_fma_f32 v2, -v2, s19, v60
	v_and_b32_e32 v57, 0x7f800000, v2
	v_cmp_ne_u32_e32 vcc, s33, v57
                                        ; implicit-def: $vgpr57
	s_and_saveexec_b64 s[8:9], vcc
	s_xor_b64 s[8:9], exec, s[8:9]
; %bb.45:                               ;   in Loop: Header=BB73_3 Depth=1
	v_bfe_u32 v57, v2, 16, 1
	v_add3_u32 v57, v2, v57, s23
                                        ; implicit-def: $vgpr2
; %bb.46:                               ;   in Loop: Header=BB73_3 Depth=1
	s_andn2_saveexec_b64 s[8:9], s[8:9]
; %bb.47:                               ;   in Loop: Header=BB73_3 Depth=1
	v_or_b32_e32 v57, 0x10000, v2
	v_cmp_eq_u32_sdwa vcc, v2, v13 src0_sel:WORD_0 src1_sel:DWORD
	s_nop 1
	v_cndmask_b32_e32 v57, v57, v2, vcc
; %bb.48:                               ;   in Loop: Header=BB73_3 Depth=1
	s_or_b64 exec, exec, s[8:9]
	v_cndmask_b32_e64 v2, 0, 1, s[20:21]
	v_cmp_ne_u32_e64 s[8:9], 1, v2
	s_andn2_b64 vcc, exec, s[20:21]
	s_cbranch_vccnz .LBB73_54
; %bb.49:                               ;   in Loop: Header=BB73_3 Depth=1
	v_and_b32_e32 v2, 0xffff0000, v57
	v_mul_f32_e32 v2, v53, v2
	v_and_b32_e32 v57, 0x7f800000, v2
	v_cmp_ne_u32_e32 vcc, s33, v57
                                        ; implicit-def: $vgpr57
	s_and_saveexec_b64 s[10:11], vcc
	s_xor_b64 s[10:11], exec, s[10:11]
; %bb.50:                               ;   in Loop: Header=BB73_3 Depth=1
	v_bfe_u32 v57, v2, 16, 1
	v_add3_u32 v57, v2, v57, s23
                                        ; implicit-def: $vgpr2
; %bb.51:                               ;   in Loop: Header=BB73_3 Depth=1
	s_andn2_saveexec_b64 s[10:11], s[10:11]
; %bb.52:                               ;   in Loop: Header=BB73_3 Depth=1
	v_or_b32_e32 v57, 0x10000, v2
	v_cmp_eq_u32_sdwa vcc, v2, v13 src0_sel:WORD_0 src1_sel:DWORD
	s_nop 1
	v_cndmask_b32_e32 v57, v57, v2, vcc
; %bb.53:                               ;   in Loop: Header=BB73_3 Depth=1
	s_or_b64 exec, exec, s[10:11]
.LBB73_54:                              ;   in Loop: Header=BB73_3 Depth=1
	v_and_b32_e32 v59, 0xffff0000, v32
	v_mul_f32_e32 v2, v51, v59
	v_fmac_f32_e32 v2, s14, v3
	v_mul_f32_e32 v3, v52, v59
	v_mul_f32_e32 v3, v3, v59
	;; [unrolled: 1-line block ×3, first 2 shown]
	v_fmac_f32_e32 v3, s13, v31
	v_fmac_f32_e32 v58, s12, v29
	v_cmp_gt_f32_e32 vcc, s18, v3
	v_mul_f32_e32 v29, 0x4f800000, v3
	v_mul_f32_e32 v60, s15, v2
	v_cndmask_b32_e32 v29, v3, v29, vcc
	v_sqrt_f32_e32 v31, v29
	v_and_b32_e32 v6, 0xffff0000, v6
	v_add_u32_e32 v59, -1, v31
	v_fma_f32 v61, -v59, v31, v29
	v_cmp_ge_f32_e64 s[10:11], 0, v61
	v_add_u32_e32 v61, 1, v31
	s_nop 0
	v_cndmask_b32_e64 v59, v31, v59, s[10:11]
	v_fma_f32 v31, -v61, v31, v29
	v_cmp_lt_f32_e64 s[10:11], 0, v31
	s_nop 1
	v_cndmask_b32_e64 v31, v59, v61, s[10:11]
	v_mul_f32_e32 v59, 0x37800000, v31
	v_cndmask_b32_e32 v31, v31, v59, vcc
	v_cmp_class_f32_e32 vcc, v29, v34
	s_nop 1
	v_cndmask_b32_e32 v29, v31, v29, vcc
	v_div_scale_f32 v31, s[10:11], v35, v35, v29
	v_rcp_f32_e32 v59, v31
	s_nop 0
	v_fma_f32 v61, -v31, v59, 1.0
	v_fmac_f32_e32 v59, v61, v59
	v_div_scale_f32 v61, vcc, v29, v35, v29
	v_mul_f32_e32 v62, v61, v59
	v_fma_f32 v63, -v31, v62, v61
	v_fmac_f32_e32 v62, v63, v59
	v_fma_f32 v31, -v31, v62, v61
	v_div_fmas_f32 v31, v31, v59, v62
	v_div_fixup_f32 v63, v31, v35, v29
	v_div_scale_f32 v29, s[10:11], v36, v36, v58
	v_rcp_f32_e32 v31, v29
	s_nop 0
	v_fma_f32 v59, -v29, v31, 1.0
	v_fmac_f32_e32 v31, v59, v31
	v_div_scale_f32 v59, vcc, v58, v36, v58
	v_mul_f32_e32 v61, v59, v31
	v_fma_f32 v62, -v29, v61, v59
	v_fmac_f32_e32 v61, v62, v31
	v_fma_f32 v29, -v29, v61, v59
	v_div_fmas_f32 v29, v29, v31, v61
	v_div_fixup_f32 v62, v29, v36, v58
	v_mov_b32_e32 v61, s16
	v_pk_add_f32 v[60:61], v[62:63], v[60:61]
	s_nop 0
	v_div_scale_f32 v29, s[10:11], v61, v61, v60
	v_rcp_f32_e32 v31, v29
	s_nop 0
	v_fma_f32 v59, -v29, v31, 1.0
	v_fmac_f32_e32 v31, v59, v31
	v_div_scale_f32 v59, vcc, v60, v61, v60
	v_mul_f32_e32 v62, v59, v31
	v_fma_f32 v63, -v29, v62, v59
	v_fmac_f32_e32 v62, v63, v31
	v_fma_f32 v29, -v29, v62, v59
	v_div_fmas_f32 v29, v29, v31, v62
	v_div_fixup_f32 v29, v29, v61, v60
	v_fma_f32 v6, -v29, s19, v6
	v_and_b32_e32 v29, 0x7f800000, v6
	v_cmp_ne_u32_e32 vcc, s33, v29
                                        ; implicit-def: $vgpr31
	s_and_saveexec_b64 s[10:11], vcc
	s_xor_b64 s[10:11], exec, s[10:11]
	s_cbranch_execnz .LBB73_72
; %bb.55:                               ;   in Loop: Header=BB73_3 Depth=1
	s_andn2_saveexec_b64 s[10:11], s[10:11]
	s_cbranch_execnz .LBB73_73
.LBB73_56:                              ;   in Loop: Header=BB73_3 Depth=1
	s_or_b64 exec, exec, s[10:11]
	s_and_b64 vcc, exec, s[8:9]
	s_cbranch_vccz .LBB73_74
	s_branch .LBB73_79
.LBB73_57:                              ;   in Loop: Header=BB73_3 Depth=1
	global_load_ushort v27, v[22:23], off
	s_or_b64 exec, exec, s[2:3]
	v_cmp_gt_u32_e64 s[2:3], s8, v38
	s_and_saveexec_b64 s[4:5], s[2:3]
	s_cbranch_execz .LBB73_5
.LBB73_58:                              ;   in Loop: Header=BB73_3 Depth=1
	global_load_ushort v26, v[22:23], off offset:128
	s_or_b64 exec, exec, s[4:5]
	v_cmp_gt_u32_e64 s[4:5], s8, v39
	s_and_saveexec_b64 s[6:7], s[4:5]
	s_cbranch_execz .LBB73_6
.LBB73_59:                              ;   in Loop: Header=BB73_3 Depth=1
	global_load_ushort v25, v[22:23], off offset:256
	s_or_b64 exec, exec, s[6:7]
	v_cmp_gt_u32_e64 s[6:7], s8, v40
	s_and_saveexec_b64 s[8:9], s[6:7]
	s_cbranch_execnz .LBB73_7
	s_branch .LBB73_8
.LBB73_60:                              ;   in Loop: Header=BB73_3 Depth=1
	global_load_dword v8, v[22:23], off
	s_or_b64 exec, exec, s[8:9]
	s_and_saveexec_b64 s[8:9], s[2:3]
	s_cbranch_execz .LBB73_10
.LBB73_61:                              ;   in Loop: Header=BB73_3 Depth=1
	global_load_dword v9, v[22:23], off offset:256
	s_or_b64 exec, exec, s[8:9]
	s_and_saveexec_b64 s[8:9], s[4:5]
	s_cbranch_execz .LBB73_11
.LBB73_62:                              ;   in Loop: Header=BB73_3 Depth=1
	global_load_dword v10, v[22:23], off offset:512
	s_or_b64 exec, exec, s[8:9]
	s_and_saveexec_b64 s[8:9], s[6:7]
	s_cbranch_execnz .LBB73_12
	s_branch .LBB73_13
.LBB73_63:                              ;   in Loop: Header=BB73_3 Depth=1
	global_load_dword v4, v[24:25], off
	s_or_b64 exec, exec, s[8:9]
	s_and_saveexec_b64 s[8:9], s[2:3]
	s_cbranch_execz .LBB73_15
.LBB73_64:                              ;   in Loop: Header=BB73_3 Depth=1
	global_load_dword v5, v[24:25], off offset:256
	s_or_b64 exec, exec, s[8:9]
	s_and_saveexec_b64 s[8:9], s[4:5]
	s_cbranch_execz .LBB73_16
.LBB73_65:                              ;   in Loop: Header=BB73_3 Depth=1
	global_load_dword v6, v[24:25], off offset:512
	s_or_b64 exec, exec, s[8:9]
	s_and_saveexec_b64 s[8:9], s[6:7]
	s_cbranch_execnz .LBB73_17
	s_branch .LBB73_18
.LBB73_66:                              ;   in Loop: Header=BB73_3 Depth=1
	global_load_ushort v61, v[4:5], off
	s_or_b64 exec, exec, s[8:9]
	s_and_saveexec_b64 s[8:9], s[2:3]
	s_cbranch_execz .LBB73_20
.LBB73_67:                              ;   in Loop: Header=BB73_3 Depth=1
	global_load_ushort v60, v[4:5], off offset:128
	s_or_b64 exec, exec, s[8:9]
	s_and_saveexec_b64 s[8:9], s[4:5]
	s_cbranch_execz .LBB73_21
.LBB73_68:                              ;   in Loop: Header=BB73_3 Depth=1
	global_load_ushort v59, v[4:5], off offset:256
	s_or_b64 exec, exec, s[8:9]
	s_and_saveexec_b64 s[8:9], s[6:7]
	s_cbranch_execnz .LBB73_22
	s_branch .LBB73_23
.LBB73_69:                              ;   in Loop: Header=BB73_3 Depth=1
	global_load_dword v0, v[26:27], off
	s_or_b64 exec, exec, s[8:9]
	s_and_saveexec_b64 s[8:9], s[2:3]
	s_cbranch_execz .LBB73_25
.LBB73_70:                              ;   in Loop: Header=BB73_3 Depth=1
	global_load_dword v1, v[26:27], off offset:256
	s_or_b64 exec, exec, s[8:9]
	s_and_saveexec_b64 s[8:9], s[4:5]
	s_cbranch_execz .LBB73_26
.LBB73_71:                              ;   in Loop: Header=BB73_3 Depth=1
	global_load_dword v2, v[26:27], off offset:512
	s_or_b64 exec, exec, s[8:9]
	s_and_saveexec_b64 s[8:9], s[6:7]
	s_cbranch_execnz .LBB73_27
	s_branch .LBB73_28
.LBB73_72:                              ;   in Loop: Header=BB73_3 Depth=1
	v_bfe_u32 v29, v6, 16, 1
	v_add3_u32 v31, v6, v29, s23
                                        ; implicit-def: $vgpr6
	s_andn2_saveexec_b64 s[10:11], s[10:11]
	s_cbranch_execz .LBB73_56
.LBB73_73:                              ;   in Loop: Header=BB73_3 Depth=1
	v_or_b32_e32 v29, 0x10000, v6
	v_cmp_eq_u32_sdwa vcc, v6, v13 src0_sel:WORD_0 src1_sel:DWORD
	s_nop 1
	v_cndmask_b32_e32 v31, v29, v6, vcc
	s_or_b64 exec, exec, s[10:11]
	s_and_b64 vcc, exec, s[8:9]
	s_cbranch_vccnz .LBB73_79
.LBB73_74:                              ;   in Loop: Header=BB73_3 Depth=1
	v_and_b32_e32 v6, 0xffff0000, v31
	v_mul_f32_e32 v6, v53, v6
	v_and_b32_e32 v29, 0x7f800000, v6
	v_cmp_ne_u32_e32 vcc, s33, v29
                                        ; implicit-def: $vgpr31
	s_and_saveexec_b64 s[10:11], vcc
	s_xor_b64 s[10:11], exec, s[10:11]
; %bb.75:                               ;   in Loop: Header=BB73_3 Depth=1
	v_bfe_u32 v29, v6, 16, 1
	v_add3_u32 v31, v6, v29, s23
                                        ; implicit-def: $vgpr6
; %bb.76:                               ;   in Loop: Header=BB73_3 Depth=1
	s_andn2_saveexec_b64 s[10:11], s[10:11]
; %bb.77:                               ;   in Loop: Header=BB73_3 Depth=1
	v_or_b32_e32 v29, 0x10000, v6
	v_cmp_eq_u32_sdwa vcc, v6, v13 src0_sel:WORD_0 src1_sel:DWORD
	s_nop 1
	v_cndmask_b32_e32 v31, v29, v6, vcc
; %bb.78:                               ;   in Loop: Header=BB73_3 Depth=1
	s_or_b64 exec, exec, s[10:11]
.LBB73_79:                              ;   in Loop: Header=BB73_3 Depth=1
	v_and_b32_e32 v29, 0xffff0000, v55
	v_mul_f32_e32 v6, v52, v29
	v_mul_f32_e32 v6, v6, v29
	v_fmac_f32_e32 v6, s13, v10
	v_mul_f32_e32 v10, 0x4f800000, v6
	v_cmp_gt_f32_e32 vcc, s18, v6
	s_nop 1
	v_cndmask_b32_e32 v59, v6, v10, vcc
	v_sqrt_f32_e32 v60, v59
	v_mul_f32_e32 v10, v12, v29
	v_fmac_f32_e32 v10, s12, v8
	v_mul_f32_e32 v29, v51, v29
	v_add_u32_e32 v8, -1, v60
	v_fma_f32 v61, -v8, v60, v59
	v_cmp_ge_f32_e64 s[10:11], 0, v61
	v_add_u32_e32 v61, 1, v60
	s_waitcnt lgkmcnt(0)
	v_fmac_f32_e32 v29, s14, v0
	v_cndmask_b32_e64 v8, v60, v8, s[10:11]
	v_fma_f32 v60, -v61, v60, v59
	v_cmp_lt_f32_e64 s[10:11], 0, v60
	s_nop 1
	v_cndmask_b32_e64 v8, v8, v61, s[10:11]
	v_mul_f32_e32 v60, 0x37800000, v8
	v_cndmask_b32_e32 v8, v8, v60, vcc
	v_cmp_class_f32_e32 vcc, v59, v34
	v_mul_f32_e32 v60, s15, v29
	s_nop 0
	v_cndmask_b32_e32 v8, v8, v59, vcc
	v_div_scale_f32 v59, s[10:11], v35, v35, v8
	v_rcp_f32_e32 v61, v59
	s_nop 0
	v_fma_f32 v0, -v59, v61, 1.0
	v_fmac_f32_e32 v61, v0, v61
	v_div_scale_f32 v0, vcc, v8, v35, v8
	v_mul_f32_e32 v62, v0, v61
	v_fma_f32 v63, -v59, v62, v0
	v_fmac_f32_e32 v62, v63, v61
	v_fma_f32 v0, -v59, v62, v0
	v_div_scale_f32 v59, s[10:11], v36, v36, v10
	v_rcp_f32_e32 v64, v59
	v_div_fmas_f32 v0, v0, v61, v62
	v_div_fixup_f32 v63, v0, v35, v8
	v_fma_f32 v0, -v59, v64, 1.0
	v_fmac_f32_e32 v64, v0, v64
	v_div_scale_f32 v0, vcc, v10, v36, v10
	v_mul_f32_e32 v8, v0, v64
	v_fma_f32 v61, -v59, v8, v0
	v_fmac_f32_e32 v8, v61, v64
	v_fma_f32 v0, -v59, v8, v0
	v_div_fmas_f32 v0, v0, v64, v8
	v_div_fixup_f32 v62, v0, v36, v10
	v_mov_b32_e32 v61, s16
	v_pk_add_f32 v[60:61], v[62:63], v[60:61]
	v_lshlrev_b32_e32 v59, 16, v7
	v_div_scale_f32 v0, s[10:11], v61, v61, v60
	v_rcp_f32_e32 v8, v0
	s_nop 0
	v_fma_f32 v62, -v0, v8, 1.0
	v_fmac_f32_e32 v8, v62, v8
	v_div_scale_f32 v62, vcc, v60, v61, v60
	v_mul_f32_e32 v63, v62, v8
	v_fma_f32 v64, -v0, v63, v62
	v_fmac_f32_e32 v63, v64, v8
	v_fma_f32 v0, -v0, v63, v62
	v_div_fmas_f32 v0, v0, v8, v63
	v_div_fixup_f32 v0, v0, v61, v60
	v_fma_f32 v0, -v0, s19, v59
	v_and_b32_e32 v8, 0x7f800000, v0
	v_cmp_ne_u32_e32 vcc, s33, v8
                                        ; implicit-def: $vgpr8
	s_and_saveexec_b64 s[10:11], vcc
	s_xor_b64 s[10:11], exec, s[10:11]
	s_cbranch_execnz .LBB73_82
; %bb.80:                               ;   in Loop: Header=BB73_3 Depth=1
	s_andn2_saveexec_b64 s[10:11], s[10:11]
	s_cbranch_execnz .LBB73_83
.LBB73_81:                              ;   in Loop: Header=BB73_3 Depth=1
	s_or_b64 exec, exec, s[10:11]
	s_and_b64 vcc, exec, s[8:9]
	s_cbranch_vccz .LBB73_84
	s_branch .LBB73_89
.LBB73_82:                              ;   in Loop: Header=BB73_3 Depth=1
	v_bfe_u32 v8, v0, 16, 1
	v_add3_u32 v8, v0, v8, s23
                                        ; implicit-def: $vgpr0
	s_andn2_saveexec_b64 s[10:11], s[10:11]
	s_cbranch_execz .LBB73_81
.LBB73_83:                              ;   in Loop: Header=BB73_3 Depth=1
	v_or_b32_e32 v8, 0x10000, v0
	v_cmp_eq_u32_sdwa vcc, v0, v13 src0_sel:WORD_0 src1_sel:DWORD
	s_nop 1
	v_cndmask_b32_e32 v8, v8, v0, vcc
	s_or_b64 exec, exec, s[10:11]
	s_and_b64 vcc, exec, s[8:9]
	s_cbranch_vccnz .LBB73_89
.LBB73_84:                              ;   in Loop: Header=BB73_3 Depth=1
	v_and_b32_e32 v0, 0xffff0000, v8
	v_mul_f32_e32 v0, v53, v0
	v_and_b32_e32 v8, 0x7f800000, v0
	v_cmp_ne_u32_e32 vcc, s33, v8
                                        ; implicit-def: $vgpr8
	s_and_saveexec_b64 s[10:11], vcc
	s_xor_b64 s[10:11], exec, s[10:11]
; %bb.85:                               ;   in Loop: Header=BB73_3 Depth=1
	v_bfe_u32 v8, v0, 16, 1
	v_add3_u32 v8, v0, v8, s23
                                        ; implicit-def: $vgpr0
; %bb.86:                               ;   in Loop: Header=BB73_3 Depth=1
	s_andn2_saveexec_b64 s[10:11], s[10:11]
; %bb.87:                               ;   in Loop: Header=BB73_3 Depth=1
	v_or_b32_e32 v8, 0x10000, v0
	v_cmp_eq_u32_sdwa vcc, v0, v13 src0_sel:WORD_0 src1_sel:DWORD
	s_nop 1
	v_cndmask_b32_e32 v8, v8, v0, vcc
; %bb.88:                               ;   in Loop: Header=BB73_3 Depth=1
	s_or_b64 exec, exec, s[10:11]
.LBB73_89:                              ;   in Loop: Header=BB73_3 Depth=1
	v_and_b32_e32 v0, 0xffff0000, v33
	v_mul_f32_e32 v59, v52, v0
	v_mul_f32_e32 v62, v59, v0
	v_fmac_f32_e32 v62, s13, v11
	v_mul_f32_e32 v11, 0x4f800000, v62
	v_cmp_gt_f32_e32 vcc, s18, v62
	v_and_b32_e32 v7, 0xffff0000, v7
	s_nop 0
	v_cndmask_b32_e32 v59, v62, v11, vcc
	v_sqrt_f32_e32 v60, v59
	v_mul_f32_e32 v11, v12, v0
	v_fmac_f32_e32 v11, s12, v9
	v_mul_f32_e32 v0, v51, v0
	v_add_u32_e32 v9, -1, v60
	v_fma_f32 v61, -v9, v60, v59
	v_cmp_ge_f32_e64 s[10:11], 0, v61
	v_add_u32_e32 v61, 1, v60
	v_fmac_f32_e32 v0, s14, v1
	v_cndmask_b32_e64 v9, v60, v9, s[10:11]
	v_fma_f32 v60, -v61, v60, v59
	v_cmp_lt_f32_e64 s[10:11], 0, v60
	s_nop 1
	v_cndmask_b32_e64 v9, v9, v61, s[10:11]
	v_mul_f32_e32 v60, 0x37800000, v9
	v_cndmask_b32_e32 v9, v9, v60, vcc
	v_cmp_class_f32_e32 vcc, v59, v34
	v_mul_f32_e32 v60, s15, v0
	s_nop 0
	v_cndmask_b32_e32 v9, v9, v59, vcc
	v_div_scale_f32 v59, s[10:11], v35, v35, v9
	v_rcp_f32_e32 v61, v59
	s_nop 0
	v_fma_f32 v1, -v59, v61, 1.0
	v_fmac_f32_e32 v61, v1, v61
	v_div_scale_f32 v1, vcc, v9, v35, v9
	v_mul_f32_e32 v63, v1, v61
	v_fma_f32 v64, -v59, v63, v1
	v_fmac_f32_e32 v63, v64, v61
	v_fma_f32 v1, -v59, v63, v1
	v_div_scale_f32 v59, s[10:11], v36, v36, v11
	v_rcp_f32_e32 v64, v59
	v_div_fmas_f32 v1, v1, v61, v63
	v_div_fixup_f32 v65, v1, v35, v9
	v_fma_f32 v1, -v59, v64, 1.0
	v_fmac_f32_e32 v64, v1, v64
	v_div_scale_f32 v1, vcc, v11, v36, v11
	v_mul_f32_e32 v9, v1, v64
	v_fma_f32 v61, -v59, v9, v1
	v_fmac_f32_e32 v9, v61, v64
	v_fma_f32 v1, -v59, v9, v1
	v_div_fmas_f32 v1, v1, v64, v9
	v_div_fixup_f32 v64, v1, v36, v11
	v_mov_b32_e32 v61, s16
	v_pk_add_f32 v[60:61], v[64:65], v[60:61]
	s_nop 0
	v_div_scale_f32 v1, s[10:11], v61, v61, v60
	v_rcp_f32_e32 v9, v1
	s_nop 0
	v_fma_f32 v59, -v1, v9, 1.0
	v_fmac_f32_e32 v9, v59, v9
	v_div_scale_f32 v59, vcc, v60, v61, v60
	v_mul_f32_e32 v63, v59, v9
	v_fma_f32 v64, -v1, v63, v59
	v_fmac_f32_e32 v63, v64, v9
	v_fma_f32 v1, -v1, v63, v59
	v_div_fmas_f32 v1, v1, v9, v63
	v_div_fixup_f32 v1, v1, v61, v60
	v_fma_f32 v7, -v1, s19, v7
	v_and_b32_e32 v1, 0x7f800000, v7
	v_cmp_ne_u32_e32 vcc, s33, v1
                                        ; implicit-def: $vgpr1
	s_and_saveexec_b64 s[10:11], vcc
	s_xor_b64 s[10:11], exec, s[10:11]
	s_cbranch_execnz .LBB73_92
; %bb.90:                               ;   in Loop: Header=BB73_3 Depth=1
	s_andn2_saveexec_b64 s[10:11], s[10:11]
	s_cbranch_execnz .LBB73_93
.LBB73_91:                              ;   in Loop: Header=BB73_3 Depth=1
	s_or_b64 exec, exec, s[10:11]
	s_and_b64 vcc, exec, s[8:9]
	s_cbranch_vccz .LBB73_94
	s_branch .LBB73_99
.LBB73_92:                              ;   in Loop: Header=BB73_3 Depth=1
	v_bfe_u32 v1, v7, 16, 1
	v_add3_u32 v1, v7, v1, s23
                                        ; implicit-def: $vgpr7
	s_andn2_saveexec_b64 s[10:11], s[10:11]
	s_cbranch_execz .LBB73_91
.LBB73_93:                              ;   in Loop: Header=BB73_3 Depth=1
	v_or_b32_e32 v1, 0x10000, v7
	v_cmp_eq_u32_sdwa vcc, v7, v13 src0_sel:WORD_0 src1_sel:DWORD
	s_nop 1
	v_cndmask_b32_e32 v1, v1, v7, vcc
	s_or_b64 exec, exec, s[10:11]
	s_and_b64 vcc, exec, s[8:9]
	s_cbranch_vccnz .LBB73_99
.LBB73_94:                              ;   in Loop: Header=BB73_3 Depth=1
	v_and_b32_e32 v1, 0xffff0000, v1
	v_mul_f32_e32 v7, v53, v1
	v_and_b32_e32 v1, 0x7f800000, v7
	v_cmp_ne_u32_e32 vcc, s33, v1
                                        ; implicit-def: $vgpr1
	s_and_saveexec_b64 s[8:9], vcc
	s_xor_b64 s[8:9], exec, s[8:9]
; %bb.95:                               ;   in Loop: Header=BB73_3 Depth=1
	v_bfe_u32 v1, v7, 16, 1
	v_add3_u32 v1, v7, v1, s23
                                        ; implicit-def: $vgpr7
; %bb.96:                               ;   in Loop: Header=BB73_3 Depth=1
	s_andn2_saveexec_b64 s[8:9], s[8:9]
; %bb.97:                               ;   in Loop: Header=BB73_3 Depth=1
	v_or_b32_e32 v1, 0x10000, v7
	v_cmp_eq_u32_sdwa vcc, v7, v13 src0_sel:WORD_0 src1_sel:DWORD
	s_nop 1
	v_cndmask_b32_e32 v1, v1, v7, vcc
; %bb.98:                               ;   in Loop: Header=BB73_3 Depth=1
	s_or_b64 exec, exec, s[8:9]
.LBB73_99:                              ;   in Loop: Header=BB73_3 Depth=1
	v_perm_b32 v9, v1, v8, s24
	v_perm_b32 v8, v31, v57, s24
	s_barrier
	ds_write_b64 v45, v[8:9]
	; wave barrier
	ds_read_u16 v61, v41
	ds_read_u16 v60, v42
	;; [unrolled: 1-line block ×4, first 2 shown]
	s_and_saveexec_b64 s[8:9], s[0:1]
	s_xor_b64 s[8:9], exec, s[8:9]
	s_cbranch_execnz .LBB73_118
; %bb.100:                              ;   in Loop: Header=BB73_3 Depth=1
	s_or_b64 exec, exec, s[8:9]
	s_and_saveexec_b64 s[8:9], s[2:3]
	s_cbranch_execnz .LBB73_119
.LBB73_101:                             ;   in Loop: Header=BB73_3 Depth=1
	s_or_b64 exec, exec, s[8:9]
	s_and_saveexec_b64 s[8:9], s[4:5]
	s_cbranch_execnz .LBB73_120
.LBB73_102:                             ;   in Loop: Header=BB73_3 Depth=1
	s_or_b64 exec, exec, s[8:9]
	s_and_saveexec_b64 s[8:9], s[6:7]
	s_cbranch_execz .LBB73_104
.LBB73_103:                             ;   in Loop: Header=BB73_3 Depth=1
	s_waitcnt lgkmcnt(0)
	global_store_short v[4:5], v57, off offset:384
.LBB73_104:                             ;   in Loop: Header=BB73_3 Depth=1
	s_or_b64 exec, exec, s[8:9]
	s_waitcnt lgkmcnt(0)
	s_barrier
	ds_write2_b32 v50, v30, v58 offset1:1
	ds_write2_b32 v50, v10, v11 offset0:2 offset1:3
	; wave barrier
	ds_read_b32 v8, v46
	ds_read_b32 v9, v47
	;; [unrolled: 1-line block ×4, first 2 shown]
	s_and_saveexec_b64 s[8:9], s[0:1]
	s_cbranch_execnz .LBB73_121
; %bb.105:                              ;   in Loop: Header=BB73_3 Depth=1
	s_or_b64 exec, exec, s[8:9]
	s_and_saveexec_b64 s[8:9], s[2:3]
	s_cbranch_execnz .LBB73_122
.LBB73_106:                             ;   in Loop: Header=BB73_3 Depth=1
	s_or_b64 exec, exec, s[8:9]
	s_and_saveexec_b64 s[8:9], s[4:5]
	s_cbranch_execnz .LBB73_123
.LBB73_107:                             ;   in Loop: Header=BB73_3 Depth=1
	s_or_b64 exec, exec, s[8:9]
	s_and_saveexec_b64 s[8:9], s[6:7]
	s_cbranch_execz .LBB73_109
.LBB73_108:                             ;   in Loop: Header=BB73_3 Depth=1
	s_waitcnt lgkmcnt(0)
	global_store_dword v[22:23], v11, off offset:768
.LBB73_109:                             ;   in Loop: Header=BB73_3 Depth=1
	s_or_b64 exec, exec, s[8:9]
	s_waitcnt lgkmcnt(0)
	s_barrier
	ds_write2_b32 v50, v56, v3 offset1:1
	ds_write2_b32 v50, v6, v62 offset0:2 offset1:3
	; wave barrier
	ds_read_b32 v4, v46
	ds_read_b32 v5, v47
	;; [unrolled: 1-line block ×4, first 2 shown]
	s_and_saveexec_b64 s[8:9], s[0:1]
	s_cbranch_execnz .LBB73_124
; %bb.110:                              ;   in Loop: Header=BB73_3 Depth=1
	s_or_b64 exec, exec, s[8:9]
	s_and_saveexec_b64 s[8:9], s[2:3]
	s_cbranch_execnz .LBB73_125
.LBB73_111:                             ;   in Loop: Header=BB73_3 Depth=1
	s_or_b64 exec, exec, s[8:9]
	s_and_saveexec_b64 s[8:9], s[4:5]
	s_cbranch_execnz .LBB73_126
.LBB73_112:                             ;   in Loop: Header=BB73_3 Depth=1
	s_or_b64 exec, exec, s[8:9]
	s_and_saveexec_b64 s[8:9], s[6:7]
	s_cbranch_execz .LBB73_114
.LBB73_113:                             ;   in Loop: Header=BB73_3 Depth=1
	s_waitcnt lgkmcnt(0)
	global_store_dword v[24:25], v7, off offset:768
.LBB73_114:                             ;   in Loop: Header=BB73_3 Depth=1
	s_or_b64 exec, exec, s[8:9]
	s_waitcnt lgkmcnt(0)
	s_barrier
	ds_write2_b32 v50, v28, v2 offset1:1
	ds_write2_b32 v50, v29, v0 offset0:2 offset1:3
	; wave barrier
	ds_read_b32 v0, v46
	ds_read_b32 v1, v47
	;; [unrolled: 1-line block ×4, first 2 shown]
	s_and_saveexec_b64 s[8:9], s[0:1]
	s_cbranch_execnz .LBB73_127
; %bb.115:                              ;   in Loop: Header=BB73_3 Depth=1
	s_or_b64 exec, exec, s[8:9]
	s_and_saveexec_b64 s[0:1], s[2:3]
	s_cbranch_execnz .LBB73_128
.LBB73_116:                             ;   in Loop: Header=BB73_3 Depth=1
	s_or_b64 exec, exec, s[0:1]
	s_and_saveexec_b64 s[0:1], s[4:5]
	s_cbranch_execnz .LBB73_129
.LBB73_117:                             ;   in Loop: Header=BB73_3 Depth=1
	s_or_b64 exec, exec, s[0:1]
	s_and_saveexec_b64 s[0:1], s[6:7]
	s_cbranch_execz .LBB73_2
	s_branch .LBB73_130
.LBB73_118:                             ;   in Loop: Header=BB73_3 Depth=1
	s_waitcnt lgkmcnt(3)
	global_store_short v[4:5], v61, off
	s_or_b64 exec, exec, s[8:9]
	s_and_saveexec_b64 s[8:9], s[2:3]
	s_cbranch_execz .LBB73_101
.LBB73_119:                             ;   in Loop: Header=BB73_3 Depth=1
	s_waitcnt lgkmcnt(2)
	global_store_short v[4:5], v60, off offset:128
	s_or_b64 exec, exec, s[8:9]
	s_and_saveexec_b64 s[8:9], s[4:5]
	s_cbranch_execz .LBB73_102
.LBB73_120:                             ;   in Loop: Header=BB73_3 Depth=1
	s_waitcnt lgkmcnt(1)
	global_store_short v[4:5], v59, off offset:256
	s_or_b64 exec, exec, s[8:9]
	s_and_saveexec_b64 s[8:9], s[6:7]
	s_cbranch_execnz .LBB73_103
	s_branch .LBB73_104
.LBB73_121:                             ;   in Loop: Header=BB73_3 Depth=1
	s_waitcnt lgkmcnt(3)
	global_store_dword v[22:23], v8, off
	s_or_b64 exec, exec, s[8:9]
	s_and_saveexec_b64 s[8:9], s[2:3]
	s_cbranch_execz .LBB73_106
.LBB73_122:                             ;   in Loop: Header=BB73_3 Depth=1
	s_waitcnt lgkmcnt(2)
	global_store_dword v[22:23], v9, off offset:256
	s_or_b64 exec, exec, s[8:9]
	s_and_saveexec_b64 s[8:9], s[4:5]
	s_cbranch_execz .LBB73_107
.LBB73_123:                             ;   in Loop: Header=BB73_3 Depth=1
	s_waitcnt lgkmcnt(1)
	global_store_dword v[22:23], v10, off offset:512
	s_or_b64 exec, exec, s[8:9]
	s_and_saveexec_b64 s[8:9], s[6:7]
	s_cbranch_execnz .LBB73_108
	s_branch .LBB73_109
.LBB73_124:                             ;   in Loop: Header=BB73_3 Depth=1
	s_waitcnt lgkmcnt(3)
	global_store_dword v[24:25], v4, off
	s_or_b64 exec, exec, s[8:9]
	s_and_saveexec_b64 s[8:9], s[2:3]
	s_cbranch_execz .LBB73_111
.LBB73_125:                             ;   in Loop: Header=BB73_3 Depth=1
	s_waitcnt lgkmcnt(2)
	global_store_dword v[24:25], v5, off offset:256
	s_or_b64 exec, exec, s[8:9]
	s_and_saveexec_b64 s[8:9], s[4:5]
	s_cbranch_execz .LBB73_112
.LBB73_126:                             ;   in Loop: Header=BB73_3 Depth=1
	s_waitcnt lgkmcnt(1)
	global_store_dword v[24:25], v6, off offset:512
	s_or_b64 exec, exec, s[8:9]
	s_and_saveexec_b64 s[8:9], s[6:7]
	s_cbranch_execnz .LBB73_113
	s_branch .LBB73_114
.LBB73_127:                             ;   in Loop: Header=BB73_3 Depth=1
	s_waitcnt lgkmcnt(3)
	global_store_dword v[26:27], v0, off
	s_or_b64 exec, exec, s[8:9]
	s_and_saveexec_b64 s[0:1], s[2:3]
	s_cbranch_execz .LBB73_116
.LBB73_128:                             ;   in Loop: Header=BB73_3 Depth=1
	s_waitcnt lgkmcnt(2)
	global_store_dword v[26:27], v1, off offset:256
	s_or_b64 exec, exec, s[0:1]
	s_and_saveexec_b64 s[0:1], s[4:5]
	s_cbranch_execz .LBB73_117
.LBB73_129:                             ;   in Loop: Header=BB73_3 Depth=1
	s_waitcnt lgkmcnt(1)
	global_store_dword v[26:27], v2, off offset:512
	s_or_b64 exec, exec, s[0:1]
	s_and_saveexec_b64 s[0:1], s[6:7]
	s_cbranch_execz .LBB73_2
.LBB73_130:                             ;   in Loop: Header=BB73_3 Depth=1
	s_waitcnt lgkmcnt(0)
	global_store_dword v[26:27], v3, off offset:768
	s_branch .LBB73_2
.LBB73_131:
	s_endpgm
	.section	.rodata,"a",@progbits
	.p2align	6, 0x0
	.amdhsa_kernel _Z21kOptimizer32bit2StateI12hip_bfloat16Li6EEvPT_S2_PfS3_S3_ffffffffiffbi
		.amdhsa_group_segment_fixed_size 16896
		.amdhsa_private_segment_fixed_size 0
		.amdhsa_kernarg_size 352
		.amdhsa_user_sgpr_count 2
		.amdhsa_user_sgpr_dispatch_ptr 0
		.amdhsa_user_sgpr_queue_ptr 0
		.amdhsa_user_sgpr_kernarg_segment_ptr 1
		.amdhsa_user_sgpr_dispatch_id 0
		.amdhsa_user_sgpr_kernarg_preload_length 0
		.amdhsa_user_sgpr_kernarg_preload_offset 0
		.amdhsa_user_sgpr_private_segment_size 0
		.amdhsa_uses_dynamic_stack 0
		.amdhsa_enable_private_segment 0
		.amdhsa_system_sgpr_workgroup_id_x 1
		.amdhsa_system_sgpr_workgroup_id_y 0
		.amdhsa_system_sgpr_workgroup_id_z 0
		.amdhsa_system_sgpr_workgroup_info 0
		.amdhsa_system_vgpr_workitem_id 0
		.amdhsa_next_free_vgpr 66
		.amdhsa_next_free_sgpr 43
		.amdhsa_accum_offset 68
		.amdhsa_reserve_vcc 1
		.amdhsa_float_round_mode_32 0
		.amdhsa_float_round_mode_16_64 0
		.amdhsa_float_denorm_mode_32 3
		.amdhsa_float_denorm_mode_16_64 3
		.amdhsa_dx10_clamp 1
		.amdhsa_ieee_mode 1
		.amdhsa_fp16_overflow 0
		.amdhsa_tg_split 0
		.amdhsa_exception_fp_ieee_invalid_op 0
		.amdhsa_exception_fp_denorm_src 0
		.amdhsa_exception_fp_ieee_div_zero 0
		.amdhsa_exception_fp_ieee_overflow 0
		.amdhsa_exception_fp_ieee_underflow 0
		.amdhsa_exception_fp_ieee_inexact 0
		.amdhsa_exception_int_div_zero 0
	.end_amdhsa_kernel
	.section	.text._Z21kOptimizer32bit2StateI12hip_bfloat16Li6EEvPT_S2_PfS3_S3_ffffffffiffbi,"axG",@progbits,_Z21kOptimizer32bit2StateI12hip_bfloat16Li6EEvPT_S2_PfS3_S3_ffffffffiffbi,comdat
.Lfunc_end73:
	.size	_Z21kOptimizer32bit2StateI12hip_bfloat16Li6EEvPT_S2_PfS3_S3_ffffffffiffbi, .Lfunc_end73-_Z21kOptimizer32bit2StateI12hip_bfloat16Li6EEvPT_S2_PfS3_S3_ffffffffiffbi
                                        ; -- End function
	.section	.AMDGPU.csdata,"",@progbits
; Kernel info:
; codeLenInByte = 7244
; NumSgprs: 49
; NumVgprs: 66
; NumAgprs: 0
; TotalNumVgprs: 66
; ScratchSize: 0
; MemoryBound: 0
; FloatMode: 240
; IeeeMode: 1
; LDSByteSize: 16896 bytes/workgroup (compile time only)
; SGPRBlocks: 6
; VGPRBlocks: 8
; NumSGPRsForWavesPerEU: 49
; NumVGPRsForWavesPerEU: 66
; AccumOffset: 68
; Occupancy: 7
; WaveLimiterHint : 0
; COMPUTE_PGM_RSRC2:SCRATCH_EN: 0
; COMPUTE_PGM_RSRC2:USER_SGPR: 2
; COMPUTE_PGM_RSRC2:TRAP_HANDLER: 0
; COMPUTE_PGM_RSRC2:TGID_X_EN: 1
; COMPUTE_PGM_RSRC2:TGID_Y_EN: 0
; COMPUTE_PGM_RSRC2:TGID_Z_EN: 0
; COMPUTE_PGM_RSRC2:TIDIG_COMP_CNT: 0
; COMPUTE_PGM_RSRC3_GFX90A:ACCUM_OFFSET: 16
; COMPUTE_PGM_RSRC3_GFX90A:TG_SPLIT: 0
	.section	.text._Z38kPreconditionOptimizerStatic8bit1StateI6__halfLi1EEvPT_S2_PhPffffiS4_S4_S4_ffi,"axG",@progbits,_Z38kPreconditionOptimizerStatic8bit1StateI6__halfLi1EEvPT_S2_PhPffffiS4_S4_S4_ffi,comdat
